;; amdgpu-corpus repo=ROCm/rocFFT kind=compiled arch=gfx906 opt=O3
	.text
	.amdgcn_target "amdgcn-amd-amdhsa--gfx906"
	.amdhsa_code_object_version 6
	.protected	fft_rtc_back_len1152_factors_4_3_8_3_4_wgs_144_tpt_144_halfLds_half_ip_CI_sbrr_dirReg ; -- Begin function fft_rtc_back_len1152_factors_4_3_8_3_4_wgs_144_tpt_144_halfLds_half_ip_CI_sbrr_dirReg
	.globl	fft_rtc_back_len1152_factors_4_3_8_3_4_wgs_144_tpt_144_halfLds_half_ip_CI_sbrr_dirReg
	.p2align	8
	.type	fft_rtc_back_len1152_factors_4_3_8_3_4_wgs_144_tpt_144_halfLds_half_ip_CI_sbrr_dirReg,@function
fft_rtc_back_len1152_factors_4_3_8_3_4_wgs_144_tpt_144_halfLds_half_ip_CI_sbrr_dirReg: ; @fft_rtc_back_len1152_factors_4_3_8_3_4_wgs_144_tpt_144_halfLds_half_ip_CI_sbrr_dirReg
; %bb.0:
	s_load_dwordx2 s[2:3], s[4:5], 0x18
	s_load_dwordx4 s[8:11], s[4:5], 0x0
	s_load_dwordx2 s[14:15], s[4:5], 0x50
	v_mul_u32_u24_e32 v1, 0x1c8, v0
	v_add_u32_sdwa v5, s6, v1 dst_sel:DWORD dst_unused:UNUSED_PAD src0_sel:DWORD src1_sel:WORD_1
	s_waitcnt lgkmcnt(0)
	s_load_dwordx2 s[12:13], s[2:3], 0x0
	v_cmp_lt_u64_e64 s[0:1], s[10:11], 2
	v_mov_b32_e32 v3, 0
	v_mov_b32_e32 v1, 0
	;; [unrolled: 1-line block ×3, first 2 shown]
	s_and_b64 vcc, exec, s[0:1]
	v_mov_b32_e32 v2, 0
	s_cbranch_vccnz .LBB0_8
; %bb.1:
	s_load_dwordx2 s[0:1], s[4:5], 0x10
	s_add_u32 s6, s2, 8
	s_addc_u32 s7, s3, 0
	v_mov_b32_e32 v1, 0
	v_mov_b32_e32 v2, 0
	s_waitcnt lgkmcnt(0)
	s_add_u32 s16, s0, 8
	s_addc_u32 s17, s1, 0
	s_mov_b64 s[18:19], 1
.LBB0_2:                                ; =>This Inner Loop Header: Depth=1
	s_load_dwordx2 s[20:21], s[16:17], 0x0
                                        ; implicit-def: $vgpr7_vgpr8
	s_waitcnt lgkmcnt(0)
	v_or_b32_e32 v4, s21, v6
	v_cmp_ne_u64_e32 vcc, 0, v[3:4]
	s_and_saveexec_b64 s[0:1], vcc
	s_xor_b64 s[22:23], exec, s[0:1]
	s_cbranch_execz .LBB0_4
; %bb.3:                                ;   in Loop: Header=BB0_2 Depth=1
	v_cvt_f32_u32_e32 v4, s20
	v_cvt_f32_u32_e32 v7, s21
	s_sub_u32 s0, 0, s20
	s_subb_u32 s1, 0, s21
	v_mac_f32_e32 v4, 0x4f800000, v7
	v_rcp_f32_e32 v4, v4
	v_mul_f32_e32 v4, 0x5f7ffffc, v4
	v_mul_f32_e32 v7, 0x2f800000, v4
	v_trunc_f32_e32 v7, v7
	v_mac_f32_e32 v4, 0xcf800000, v7
	v_cvt_u32_f32_e32 v7, v7
	v_cvt_u32_f32_e32 v4, v4
	v_mul_lo_u32 v8, s0, v7
	v_mul_hi_u32 v9, s0, v4
	v_mul_lo_u32 v11, s1, v4
	v_mul_lo_u32 v10, s0, v4
	v_add_u32_e32 v8, v9, v8
	v_add_u32_e32 v8, v8, v11
	v_mul_hi_u32 v9, v4, v10
	v_mul_lo_u32 v11, v4, v8
	v_mul_hi_u32 v13, v4, v8
	v_mul_hi_u32 v12, v7, v10
	v_mul_lo_u32 v10, v7, v10
	v_mul_hi_u32 v14, v7, v8
	v_add_co_u32_e32 v9, vcc, v9, v11
	v_addc_co_u32_e32 v11, vcc, 0, v13, vcc
	v_mul_lo_u32 v8, v7, v8
	v_add_co_u32_e32 v9, vcc, v9, v10
	v_addc_co_u32_e32 v9, vcc, v11, v12, vcc
	v_addc_co_u32_e32 v10, vcc, 0, v14, vcc
	v_add_co_u32_e32 v8, vcc, v9, v8
	v_addc_co_u32_e32 v9, vcc, 0, v10, vcc
	v_add_co_u32_e32 v4, vcc, v4, v8
	v_addc_co_u32_e32 v7, vcc, v7, v9, vcc
	v_mul_lo_u32 v8, s0, v7
	v_mul_hi_u32 v9, s0, v4
	v_mul_lo_u32 v10, s1, v4
	v_mul_lo_u32 v11, s0, v4
	v_add_u32_e32 v8, v9, v8
	v_add_u32_e32 v8, v8, v10
	v_mul_lo_u32 v12, v4, v8
	v_mul_hi_u32 v13, v4, v11
	v_mul_hi_u32 v14, v4, v8
	;; [unrolled: 1-line block ×3, first 2 shown]
	v_mul_lo_u32 v11, v7, v11
	v_mul_hi_u32 v9, v7, v8
	v_add_co_u32_e32 v12, vcc, v13, v12
	v_addc_co_u32_e32 v13, vcc, 0, v14, vcc
	v_mul_lo_u32 v8, v7, v8
	v_add_co_u32_e32 v11, vcc, v12, v11
	v_addc_co_u32_e32 v10, vcc, v13, v10, vcc
	v_addc_co_u32_e32 v9, vcc, 0, v9, vcc
	v_add_co_u32_e32 v8, vcc, v10, v8
	v_addc_co_u32_e32 v9, vcc, 0, v9, vcc
	v_add_co_u32_e32 v4, vcc, v4, v8
	v_addc_co_u32_e32 v9, vcc, v7, v9, vcc
	v_mad_u64_u32 v[7:8], s[0:1], v5, v9, 0
	v_mul_hi_u32 v10, v5, v4
	v_add_co_u32_e32 v11, vcc, v10, v7
	v_addc_co_u32_e32 v12, vcc, 0, v8, vcc
	v_mad_u64_u32 v[7:8], s[0:1], v6, v4, 0
	v_mad_u64_u32 v[9:10], s[0:1], v6, v9, 0
	v_add_co_u32_e32 v4, vcc, v11, v7
	v_addc_co_u32_e32 v4, vcc, v12, v8, vcc
	v_addc_co_u32_e32 v7, vcc, 0, v10, vcc
	v_add_co_u32_e32 v4, vcc, v4, v9
	v_addc_co_u32_e32 v9, vcc, 0, v7, vcc
	v_mul_lo_u32 v10, s21, v4
	v_mul_lo_u32 v11, s20, v9
	v_mad_u64_u32 v[7:8], s[0:1], s20, v4, 0
	v_add3_u32 v8, v8, v11, v10
	v_sub_u32_e32 v10, v6, v8
	v_mov_b32_e32 v11, s21
	v_sub_co_u32_e32 v7, vcc, v5, v7
	v_subb_co_u32_e64 v10, s[0:1], v10, v11, vcc
	v_subrev_co_u32_e64 v11, s[0:1], s20, v7
	v_subbrev_co_u32_e64 v10, s[0:1], 0, v10, s[0:1]
	v_cmp_le_u32_e64 s[0:1], s21, v10
	v_cndmask_b32_e64 v12, 0, -1, s[0:1]
	v_cmp_le_u32_e64 s[0:1], s20, v11
	v_cndmask_b32_e64 v11, 0, -1, s[0:1]
	v_cmp_eq_u32_e64 s[0:1], s21, v10
	v_cndmask_b32_e64 v10, v12, v11, s[0:1]
	v_add_co_u32_e64 v11, s[0:1], 2, v4
	v_addc_co_u32_e64 v12, s[0:1], 0, v9, s[0:1]
	v_add_co_u32_e64 v13, s[0:1], 1, v4
	v_addc_co_u32_e64 v14, s[0:1], 0, v9, s[0:1]
	v_subb_co_u32_e32 v8, vcc, v6, v8, vcc
	v_cmp_ne_u32_e64 s[0:1], 0, v10
	v_cmp_le_u32_e32 vcc, s21, v8
	v_cndmask_b32_e64 v10, v14, v12, s[0:1]
	v_cndmask_b32_e64 v12, 0, -1, vcc
	v_cmp_le_u32_e32 vcc, s20, v7
	v_cndmask_b32_e64 v7, 0, -1, vcc
	v_cmp_eq_u32_e32 vcc, s21, v8
	v_cndmask_b32_e32 v7, v12, v7, vcc
	v_cmp_ne_u32_e32 vcc, 0, v7
	v_cndmask_b32_e64 v7, v13, v11, s[0:1]
	v_cndmask_b32_e32 v8, v9, v10, vcc
	v_cndmask_b32_e32 v7, v4, v7, vcc
.LBB0_4:                                ;   in Loop: Header=BB0_2 Depth=1
	s_andn2_saveexec_b64 s[0:1], s[22:23]
	s_cbranch_execz .LBB0_6
; %bb.5:                                ;   in Loop: Header=BB0_2 Depth=1
	v_cvt_f32_u32_e32 v4, s20
	s_sub_i32 s22, 0, s20
	v_rcp_iflag_f32_e32 v4, v4
	v_mul_f32_e32 v4, 0x4f7ffffe, v4
	v_cvt_u32_f32_e32 v4, v4
	v_mul_lo_u32 v7, s22, v4
	v_mul_hi_u32 v7, v4, v7
	v_add_u32_e32 v4, v4, v7
	v_mul_hi_u32 v4, v5, v4
	v_mul_lo_u32 v7, v4, s20
	v_add_u32_e32 v8, 1, v4
	v_sub_u32_e32 v7, v5, v7
	v_subrev_u32_e32 v9, s20, v7
	v_cmp_le_u32_e32 vcc, s20, v7
	v_cndmask_b32_e32 v7, v7, v9, vcc
	v_cndmask_b32_e32 v4, v4, v8, vcc
	v_add_u32_e32 v8, 1, v4
	v_cmp_le_u32_e32 vcc, s20, v7
	v_cndmask_b32_e32 v7, v4, v8, vcc
	v_mov_b32_e32 v8, v3
.LBB0_6:                                ;   in Loop: Header=BB0_2 Depth=1
	s_or_b64 exec, exec, s[0:1]
	v_mul_lo_u32 v4, v8, s20
	v_mul_lo_u32 v11, v7, s21
	v_mad_u64_u32 v[9:10], s[0:1], v7, s20, 0
	s_load_dwordx2 s[0:1], s[6:7], 0x0
	s_add_u32 s18, s18, 1
	v_add3_u32 v4, v10, v11, v4
	v_sub_co_u32_e32 v5, vcc, v5, v9
	v_subb_co_u32_e32 v4, vcc, v6, v4, vcc
	s_waitcnt lgkmcnt(0)
	v_mul_lo_u32 v4, s0, v4
	v_mul_lo_u32 v6, s1, v5
	v_mad_u64_u32 v[1:2], s[0:1], s0, v5, v[1:2]
	s_addc_u32 s19, s19, 0
	s_add_u32 s6, s6, 8
	v_add3_u32 v2, v6, v2, v4
	v_mov_b32_e32 v4, s10
	v_mov_b32_e32 v5, s11
	s_addc_u32 s7, s7, 0
	v_cmp_ge_u64_e32 vcc, s[18:19], v[4:5]
	s_add_u32 s16, s16, 8
	s_addc_u32 s17, s17, 0
	s_cbranch_vccnz .LBB0_9
; %bb.7:                                ;   in Loop: Header=BB0_2 Depth=1
	v_mov_b32_e32 v5, v7
	v_mov_b32_e32 v6, v8
	s_branch .LBB0_2
.LBB0_8:
	v_mov_b32_e32 v8, v6
	v_mov_b32_e32 v7, v5
.LBB0_9:
	s_lshl_b64 s[0:1], s[10:11], 3
	s_add_u32 s0, s2, s0
	s_addc_u32 s1, s3, s1
	s_load_dwordx2 s[2:3], s[0:1], 0x0
	s_load_dwordx2 s[6:7], s[4:5], 0x20
                                        ; implicit-def: $sgpr4
                                        ; implicit-def: $vgpr10
	s_waitcnt lgkmcnt(0)
	v_mad_u64_u32 v[1:2], s[0:1], s2, v7, v[1:2]
	s_mov_b32 s0, 0x1c71c72
	v_mul_lo_u32 v3, s2, v8
	v_mul_lo_u32 v4, s3, v7
	v_mul_hi_u32 v5, v0, s0
	v_cmp_gt_u64_e32 vcc, s[6:7], v[7:8]
	v_cmp_le_u64_e64 s[0:1], s[6:7], v[7:8]
	v_add3_u32 v2, v4, v2, v3
	v_mul_u32_u24_e32 v3, 0x90, v5
	v_sub_u32_e32 v6, v0, v3
                                        ; implicit-def: $vgpr7
	s_and_saveexec_b64 s[2:3], s[0:1]
	s_xor_b64 s[0:1], exec, s[2:3]
; %bb.10:
	v_add_u32_e32 v7, 0x90, v6
	v_add_u32_e32 v10, 0x120, v6
	s_mov_b32 s4, 0
; %bb.11:
	s_or_saveexec_b64 s[2:3], s[0:1]
	v_lshlrev_b64 v[4:5], 2, v[1:2]
	v_mov_b32_e32 v11, s4
	v_mov_b32_e32 v3, s4
	v_mov_b32_e32 v1, s4
	v_mov_b32_e32 v12, s4
                                        ; implicit-def: $vgpr16
                                        ; implicit-def: $vgpr0
                                        ; implicit-def: $vgpr14
                                        ; implicit-def: $vgpr2
                                        ; implicit-def: $vgpr15
                                        ; implicit-def: $vgpr8
                                        ; implicit-def: $vgpr13
                                        ; implicit-def: $vgpr9
	s_xor_b64 exec, exec, s[2:3]
	s_cbranch_execz .LBB0_13
; %bb.12:
	v_mad_u64_u32 v[0:1], s[0:1], s12, v6, 0
	v_add_u32_e32 v10, 0x120, v6
	v_mov_b32_e32 v7, s15
	v_mad_u64_u32 v[1:2], s[0:1], s13, v6, v[1:2]
	v_mad_u64_u32 v[2:3], s[0:1], s12, v10, 0
	v_add_co_u32_e64 v28, s[0:1], s14, v4
	v_addc_co_u32_e64 v29, s[0:1], v7, v5, s[0:1]
	v_mad_u64_u32 v[7:8], s[0:1], s13, v10, v[3:4]
	v_add_u32_e32 v11, 0x240, v6
	v_mad_u64_u32 v[8:9], s[0:1], s12, v11, 0
	v_lshlrev_b64 v[0:1], 2, v[0:1]
	v_mov_b32_e32 v3, v7
	v_add_co_u32_e64 v12, s[0:1], v28, v0
	v_addc_co_u32_e64 v13, s[0:1], v29, v1, s[0:1]
	v_lshlrev_b64 v[0:1], 2, v[2:3]
	v_mov_b32_e32 v2, v9
	v_mad_u64_u32 v[2:3], s[0:1], s13, v11, v[2:3]
	v_add_u32_e32 v3, 0x360, v6
	v_mad_u64_u32 v[14:15], s[0:1], s12, v3, 0
	v_add_co_u32_e64 v16, s[0:1], v28, v0
	v_mov_b32_e32 v9, v2
	v_mov_b32_e32 v2, v15
	v_add_u32_e32 v7, 0x90, v6
	v_addc_co_u32_e64 v17, s[0:1], v29, v1, s[0:1]
	v_lshlrev_b64 v[0:1], 2, v[8:9]
	v_mad_u64_u32 v[2:3], s[0:1], s13, v3, v[2:3]
	v_mad_u64_u32 v[8:9], s[0:1], s12, v7, 0
	v_add_co_u32_e64 v18, s[0:1], v28, v0
	v_mov_b32_e32 v15, v2
	v_mov_b32_e32 v2, v9
	v_addc_co_u32_e64 v19, s[0:1], v29, v1, s[0:1]
	v_mad_u64_u32 v[2:3], s[0:1], s13, v7, v[2:3]
	v_add_u32_e32 v3, 0x1b0, v6
	v_lshlrev_b64 v[0:1], 2, v[14:15]
	v_mad_u64_u32 v[14:15], s[0:1], s12, v3, 0
	v_add_co_u32_e64 v20, s[0:1], v28, v0
	v_mov_b32_e32 v9, v2
	v_mov_b32_e32 v2, v15
	v_addc_co_u32_e64 v21, s[0:1], v29, v1, s[0:1]
	v_mad_u64_u32 v[2:3], s[0:1], s13, v3, v[2:3]
	v_add_u32_e32 v3, 0x2d0, v6
	v_lshlrev_b64 v[0:1], 2, v[8:9]
	;; [unrolled: 8-line block ×3, first 2 shown]
	v_mad_u64_u32 v[14:15], s[0:1], s12, v3, 0
	v_add_co_u32_e64 v24, s[0:1], v28, v0
	v_mov_b32_e32 v9, v2
	v_mov_b32_e32 v2, v15
	v_addc_co_u32_e64 v25, s[0:1], v29, v1, s[0:1]
	v_mad_u64_u32 v[2:3], s[0:1], s13, v3, v[2:3]
	v_lshlrev_b64 v[0:1], 2, v[8:9]
	v_mov_b32_e32 v15, v2
	v_add_co_u32_e64 v26, s[0:1], v28, v0
	v_lshlrev_b64 v[8:9], 2, v[14:15]
	v_addc_co_u32_e64 v27, s[0:1], v29, v1, s[0:1]
	global_load_dword v11, v[12:13], off
	global_load_dword v3, v[16:17], off
	global_load_dword v0, v[18:19], off
	global_load_dword v2, v[20:21], off
	v_add_co_u32_e64 v13, s[0:1], v28, v8
	v_addc_co_u32_e64 v14, s[0:1], v29, v9, s[0:1]
	global_load_dword v8, v[26:27], off
	global_load_dword v9, v[13:14], off
	;; [unrolled: 1-line block ×4, first 2 shown]
	s_waitcnt vmcnt(5)
	v_lshrrev_b32_e32 v16, 16, v0
	s_waitcnt vmcnt(4)
	v_lshrrev_b32_e32 v14, 16, v2
	s_waitcnt vmcnt(3)
	v_lshrrev_b32_e32 v15, 16, v8
	s_waitcnt vmcnt(2)
	v_lshrrev_b32_e32 v13, 16, v9
.LBB0_13:
	s_or_b64 exec, exec, s[2:3]
	v_sub_f16_e32 v0, v11, v0
	v_sub_f16_e32 v21, v3, v2
	v_fma_f16 v17, v11, 2.0, -v0
	v_lshrrev_b32_e32 v24, 16, v3
	v_fma_f16 v2, v3, 2.0, -v21
	v_sub_f16_e32 v25, v24, v14
	v_sub_f16_e32 v2, v17, v2
	v_fma_f16 v14, v17, 2.0, -v2
	v_add_f16_e32 v17, v0, v25
	s_waitcnt vmcnt(1)
	v_sub_f16_e32 v8, v1, v8
	s_waitcnt vmcnt(0)
	v_sub_f16_e32 v22, v12, v9
	v_fma_f16 v18, v0, 2.0, -v17
	v_fma_f16 v3, v1, 2.0, -v8
	v_lshrrev_b32_e32 v26, 16, v12
	v_fma_f16 v0, v12, 2.0, -v22
	v_sub_f16_e32 v27, v26, v13
	v_sub_f16_e32 v0, v3, v0
	v_fma_f16 v9, v3, 2.0, -v0
	v_add_f16_e32 v3, v8, v27
	v_fma_f16 v8, v8, 2.0, -v3
	v_lshl_add_u32 v23, v6, 3, 0
	v_pack_b32_f16 v2, v2, v17
	v_pack_b32_f16 v12, v14, v18
	v_lshl_add_u32 v19, v7, 3, 0
	ds_write2_b32 v23, v12, v2 offset1:1
	v_pack_b32_f16 v2, v0, v3
	v_pack_b32_f16 v8, v9, v8
	v_mad_i32_i24 v9, v6, -6, v23
	v_mad_i32_i24 v12, v7, -6, v19
	ds_write2_b32 v19, v8, v2 offset1:1
	s_waitcnt lgkmcnt(0)
	s_barrier
	ds_read_u16 v2, v9
	ds_read_u16 v13, v9 offset:768
	ds_read_u16 v12, v12
	ds_read_u16 v14, v9 offset:1824
	ds_read_u16 v18, v9 offset:1536
	;; [unrolled: 1-line block ×3, first 2 shown]
	v_mul_i32_i24_e32 v8, -6, v6
	s_movk_i32 s0, 0x60
	v_mul_i32_i24_e32 v28, -6, v7
	v_cmp_gt_u32_e64 s[0:1], s0, v6
	v_add_u32_e32 v8, v23, v8
	v_lshl_add_u32 v9, v10, 1, 0
                                        ; implicit-def: $vgpr20
	s_and_saveexec_b64 s[2:3], s[0:1]
	s_cbranch_execz .LBB0_15
; %bb.14:
	ds_read_u16 v3, v8 offset:1344
	ds_read_u16 v0, v9
	ds_read_u16 v20, v8 offset:2112
.LBB0_15:
	s_or_b64 exec, exec, s[2:3]
	v_lshrrev_b32_e32 v11, 16, v11
	v_lshrrev_b32_e32 v1, 16, v1
	v_sub_f16_e32 v16, v11, v16
	v_sub_f16_e32 v15, v1, v15
	v_fma_f16 v11, v11, 2.0, -v16
	v_fma_f16 v24, v24, 2.0, -v25
	v_sub_f16_e32 v25, v16, v21
	v_fma_f16 v21, v1, 2.0, -v15
	v_fma_f16 v1, v26, 2.0, -v27
	v_sub_f16_e32 v24, v11, v24
	v_sub_f16_e32 v1, v21, v1
	v_fma_f16 v11, v11, 2.0, -v24
	v_fma_f16 v16, v16, 2.0, -v25
	;; [unrolled: 1-line block ×3, first 2 shown]
	v_sub_f16_e32 v21, v15, v22
	v_fma_f16 v15, v15, 2.0, -v21
	v_pack_b32_f16 v22, v24, v25
	v_pack_b32_f16 v11, v11, v16
	s_waitcnt lgkmcnt(0)
	s_barrier
	ds_write2_b32 v23, v11, v22 offset1:1
	v_pack_b32_f16 v11, v1, v21
	v_pack_b32_f16 v15, v26, v15
	ds_write2_b32 v19, v15, v11 offset1:1
	s_waitcnt lgkmcnt(0)
	s_barrier
	ds_read_u16 v24, v8 offset:768
	v_add_u32_e32 v11, v19, v28
	ds_read_u16 v23, v8 offset:1824
	ds_read_u16 v27, v8 offset:1536
	;; [unrolled: 1-line block ×3, first 2 shown]
	ds_read_u16 v19, v8
	ds_read_u16 v16, v11
                                        ; implicit-def: $vgpr28
	s_and_saveexec_b64 s[2:3], s[0:1]
	s_cbranch_execz .LBB0_17
; %bb.16:
	ds_read_u16 v21, v8 offset:1344
	ds_read_u16 v1, v9
	ds_read_u16 v28, v8 offset:2112
.LBB0_17:
	s_or_b64 exec, exec, s[2:3]
	v_and_b32_e32 v15, 3, v6
	v_lshlrev_b32_e32 v22, 3, v15
	global_load_dwordx2 v[32:33], v22, s[8:9]
	v_lshrrev_b32_e32 v26, 2, v7
	v_mul_lo_u32 v29, v26, 12
	v_lshrrev_b32_e32 v22, 2, v6
	v_mul_u32_u24_e32 v22, 12, v22
	v_or_b32_e32 v22, v22, v15
	v_lshl_add_u32 v26, v22, 1, 0
	v_or_b32_e32 v22, v29, v15
	s_mov_b32 s4, 0xbaee
	s_movk_i32 s5, 0x3aee
	s_waitcnt vmcnt(0) lgkmcnt(0)
	s_barrier
	v_lshl_add_u32 v22, v22, 1, 0
	v_mul_f16_sdwa v29, v24, v32 dst_sel:DWORD dst_unused:UNUSED_PAD src0_sel:DWORD src1_sel:WORD_1
	v_mul_f16_sdwa v30, v13, v32 dst_sel:DWORD dst_unused:UNUSED_PAD src0_sel:DWORD src1_sel:WORD_1
	;; [unrolled: 1-line block ×9, first 2 shown]
	v_fma_f16 v29, v13, v32, v29
	v_fma_f16 v31, v24, v32, -v30
	v_fma_f16 v30, v18, v33, v34
	v_mul_f16_sdwa v37, v17, v32 dst_sel:DWORD dst_unused:UNUSED_PAD src0_sel:DWORD src1_sel:WORD_1
	v_mul_f16_sdwa v39, v14, v33 dst_sel:DWORD dst_unused:UNUSED_PAD src0_sel:DWORD src1_sel:WORD_1
	;; [unrolled: 1-line block ×3, first 2 shown]
	v_fma_f16 v27, v27, v33, -v35
	v_fma_f16 v17, v17, v32, v36
	v_fma_f16 v18, v14, v33, v38
	;; [unrolled: 1-line block ×4, first 2 shown]
	v_fma_f16 v20, v28, v33, -v43
	v_add_f16_e32 v28, v29, v30
	v_fma_f16 v24, v25, v32, -v37
	v_fma_f16 v23, v23, v33, -v39
	;; [unrolled: 1-line block ×3, first 2 shown]
	v_add_f16_e32 v21, v2, v29
	v_sub_f16_e32 v32, v31, v27
	v_add_f16_e32 v34, v17, v18
	v_add_f16_e32 v36, v13, v14
	v_fma_f16 v2, v28, -0.5, v2
	v_add_f16_e32 v33, v12, v17
	v_sub_f16_e32 v35, v24, v23
	v_sub_f16_e32 v25, v3, v20
	v_add_f16_e32 v28, v21, v30
	v_fma_f16 v12, v34, -0.5, v12
	v_fma_f16 v21, v36, -0.5, v0
	v_fma_f16 v34, v32, s4, v2
	v_fma_f16 v2, v32, s5, v2
	v_add_f16_e32 v33, v33, v18
	v_fma_f16 v32, v35, s4, v12
	v_fma_f16 v35, v35, s5, v12
	;; [unrolled: 1-line block ×3, first 2 shown]
	ds_write_b16 v26, v28
	ds_write_b16 v26, v34 offset:8
	ds_write_b16 v26, v2 offset:16
	ds_write_b16 v22, v33
	ds_write_b16 v22, v32 offset:8
	ds_write_b16 v22, v35 offset:16
	v_lshrrev_b32_e32 v2, 2, v10
	s_and_saveexec_b64 s[2:3], s[0:1]
	s_cbranch_execz .LBB0_19
; %bb.18:
	v_mul_lo_u32 v28, v2, 12
	v_mul_f16_e32 v25, 0x3aee, v25
	v_add_f16_e32 v0, v0, v13
	v_sub_f16_e32 v21, v21, v25
	v_or_b32_e32 v25, v28, v15
	v_lshl_add_u32 v25, v25, 1, 0
	v_add_f16_e32 v0, v0, v14
	ds_write_b16 v25, v0
	ds_write_b16 v25, v21 offset:8
	ds_write_b16 v25, v12 offset:16
.LBB0_19:
	s_or_b64 exec, exec, s[2:3]
	v_add_f16_e32 v0, v19, v31
	v_add_f16_e32 v28, v0, v27
	;; [unrolled: 1-line block ×3, first 2 shown]
	v_fma_f16 v0, v0, -0.5, v19
	v_sub_f16_e32 v19, v29, v30
	v_fma_f16 v27, v19, s5, v0
	v_fma_f16 v29, v19, s4, v0
	v_add_f16_e32 v0, v16, v24
	v_add_f16_e32 v30, v0, v23
	;; [unrolled: 1-line block ×3, first 2 shown]
	v_fma_f16 v0, v0, -0.5, v16
	v_sub_f16_e32 v16, v17, v18
	v_fma_f16 v31, v16, s5, v0
	v_fma_f16 v32, v16, s4, v0
	v_sub_f16_e32 v23, v13, v14
	s_waitcnt lgkmcnt(0)
	s_barrier
	ds_read_u16 v17, v8 offset:864
	ds_read_u16 v14, v8 offset:1152
	;; [unrolled: 1-line block ×4, first 2 shown]
	ds_read_u16 v18, v9
	ds_read_u16 v24, v8 offset:2016
	ds_read_u16 v16, v8
	ds_read_u16 v19, v11
	v_add_f16_e32 v0, v3, v20
	v_fma_f16 v0, v0, -0.5, v1
	v_fma_f16 v13, v23, s4, v0
	s_waitcnt lgkmcnt(0)
	s_barrier
	ds_write_b16 v26, v28
	ds_write_b16 v26, v27 offset:8
	ds_write_b16 v26, v29 offset:16
	ds_write_b16 v22, v30
	ds_write_b16 v22, v31 offset:8
	ds_write_b16 v22, v32 offset:16
	s_and_saveexec_b64 s[2:3], s[0:1]
	s_cbranch_execz .LBB0_21
; %bb.20:
	v_mul_lo_u32 v2, v2, 12
	v_add_f16_e32 v1, v1, v3
	v_mul_f16_e32 v22, 0x3aee, v23
	v_add_f16_e32 v1, v1, v20
	v_or_b32_e32 v2, v2, v15
	v_lshl_add_u32 v2, v2, 1, 0
	v_add_f16_e32 v0, v22, v0
	ds_write_b16 v2, v1
	ds_write_b16 v2, v0 offset:8
	ds_write_b16 v2, v13 offset:16
.LBB0_21:
	s_or_b64 exec, exec, s[2:3]
	s_movk_i32 s2, 0xab
	v_mul_lo_u16_sdwa v0, v6, s2 dst_sel:DWORD dst_unused:UNUSED_PAD src0_sel:BYTE_0 src1_sel:DWORD
	v_lshrrev_b16_e32 v15, 11, v0
	v_mul_lo_u16_e32 v0, 12, v15
	v_sub_u16_e32 v23, v6, v0
	v_mov_b32_e32 v0, 7
	v_mul_u32_u24_sdwa v0, v23, v0 dst_sel:DWORD dst_unused:UNUSED_PAD src0_sel:BYTE_0 src1_sel:DWORD
	v_lshlrev_b32_e32 v20, 2, v0
	s_waitcnt lgkmcnt(0)
	s_barrier
	global_load_dwordx3 v[26:28], v20, s[8:9] offset:48
	global_load_dwordx4 v[0:3], v20, s[8:9] offset:32
	ds_read_u16 v29, v11
	ds_read_u16 v20, v8
	ds_read_u16 v30, v8 offset:864
	ds_read_u16 v22, v8 offset:1152
	ds_read_u16 v31, v8 offset:1440
	ds_read_u16 v32, v8 offset:1728
	ds_read_u16 v33, v9
	ds_read_u16 v34, v8 offset:2016
	v_mul_u32_u24_e32 v15, 0x60, v15
	v_or_b32_sdwa v15, v15, v23 dst_sel:DWORD dst_unused:UNUSED_PAD src0_sel:DWORD src1_sel:BYTE_0
	v_lshl_add_u32 v23, v15, 1, 0
	s_movk_i32 s2, 0x39a8
	s_mov_b32 s3, 0xb9a8
	s_waitcnt vmcnt(0) lgkmcnt(0)
	s_barrier
	v_mul_f16_sdwa v15, v31, v26 dst_sel:DWORD dst_unused:UNUSED_PAD src0_sel:DWORD src1_sel:WORD_1
	v_mul_f16_sdwa v35, v25, v26 dst_sel:DWORD dst_unused:UNUSED_PAD src0_sel:DWORD src1_sel:WORD_1
	;; [unrolled: 1-line block ×13, first 2 shown]
	v_fma_f16 v15, v25, v26, v15
	v_fma_f16 v26, v31, v26, -v35
	v_fma_f16 v21, v21, v27, v36
	v_fma_f16 v25, v32, v27, -v37
	;; [unrolled: 2-line block ×6, first 2 shown]
	v_fma_f16 v24, v14, v3, v46
	v_sub_f16_e32 v29, v16, v24
	v_sub_f16_e32 v24, v18, v21
	v_sub_f16_e32 v25, v1, v25
	v_sub_f16_e32 v15, v19, v15
	v_sub_f16_e32 v21, v0, v26
	v_sub_f16_e32 v27, v17, v27
	v_sub_f16_e32 v28, v2, v28
	v_fma_f16 v16, v16, 2.0, -v29
	v_fma_f16 v18, v18, 2.0, -v24
	v_fma_f16 v19, v19, 2.0, -v15
	v_fma_f16 v26, v0, 2.0, -v21
	v_fma_f16 v0, v17, 2.0, -v27
	v_fma_f16 v2, v2, 2.0, -v28
	v_add_f16_e32 v17, v29, v25
	v_add_f16_e32 v30, v15, v28
	v_sub_f16_e32 v33, v21, v27
	v_sub_f16_e32 v18, v16, v18
	v_fma_f16 v29, v29, 2.0, -v17
	v_sub_f16_e32 v27, v19, v0
	v_sub_f16_e32 v28, v26, v2
	v_fma_f16 v31, v15, 2.0, -v30
	v_fma_f16 v32, v21, 2.0, -v33
	v_fma_f16 v2, v30, s2, v17
	v_fma_f16 v15, v16, 2.0, -v18
	v_fma_f16 v16, v19, 2.0, -v27
	v_add_f16_e32 v0, v18, v28
	v_fma_f16 v19, v31, s3, v29
	v_fma_f16 v2, v33, s2, v2
	v_fma_f16 v18, v18, 2.0, -v0
	v_sub_f16_e32 v16, v15, v16
	v_fma_f16 v19, v32, s2, v19
	v_fma_f16 v17, v17, 2.0, -v2
	ds_write_b16 v23, v0 offset:144
	ds_write_b16 v23, v18 offset:48
	v_fma_f16 v15, v15, 2.0, -v16
	v_fma_f16 v18, v29, 2.0, -v19
	ds_write_b16 v23, v17 offset:72
	ds_write_b16 v23, v16 offset:96
	;; [unrolled: 1-line block ×3, first 2 shown]
	ds_write_b16 v23, v15
	ds_write_b16 v23, v18 offset:24
	ds_write_b16 v23, v2 offset:168
	s_waitcnt lgkmcnt(0)
	s_barrier
	ds_read_u16 v19, v8 offset:1824
	ds_read_u16 v17, v8 offset:1536
	;; [unrolled: 1-line block ×4, first 2 shown]
	ds_read_u16 v15, v8
	ds_read_u16 v16, v11
	v_mul_f16_e32 v31, 0x39a8, v31
	v_mul_f16_e32 v32, 0x39a8, v32
	;; [unrolled: 1-line block ×4, first 2 shown]
	s_and_saveexec_b64 s[2:3], s[0:1]
	s_cbranch_execz .LBB0_23
; %bb.22:
	ds_read_u16 v2, v8 offset:1344
	ds_read_u16 v0, v9
	ds_read_u16 v12, v8 offset:2112
.LBB0_23:
	s_or_b64 exec, exec, s[2:3]
	v_mul_f16_sdwa v14, v14, v3 dst_sel:DWORD dst_unused:UNUSED_PAD src0_sel:DWORD src1_sel:WORD_1
	v_fma_f16 v3, v22, v3, -v14
	v_sub_f16_e32 v3, v20, v3
	v_fma_f16 v14, v20, 2.0, -v3
	v_fma_f16 v1, v1, 2.0, -v25
	v_sub_f16_e32 v20, v14, v1
	v_fma_f16 v1, v14, 2.0, -v20
	v_sub_f16_e32 v14, v3, v24
	v_fma_f16 v22, v26, 2.0, -v28
	v_fma_f16 v3, v3, 2.0, -v14
	v_sub_f16_e32 v22, v1, v22
	v_fma_f16 v24, v1, 2.0, -v22
	v_sub_f16_e32 v1, v3, v32
	v_sub_f16_e32 v25, v1, v31
	;; [unrolled: 1-line block ×3, first 2 shown]
	v_fma_f16 v26, v20, 2.0, -v1
	v_add_f16_e32 v20, v14, v30
	v_sub_f16_e32 v20, v20, v29
	v_fma_f16 v3, v3, 2.0, -v25
	v_fma_f16 v14, v14, 2.0, -v20
	s_waitcnt lgkmcnt(0)
	s_barrier
	ds_write_b16 v23, v24
	ds_write_b16 v23, v3 offset:24
	ds_write_b16 v23, v26 offset:48
	;; [unrolled: 1-line block ×7, first 2 shown]
	s_waitcnt lgkmcnt(0)
	s_barrier
	ds_read_u16 v22, v8 offset:768
	ds_read_u16 v24, v8 offset:1824
	;; [unrolled: 1-line block ×4, first 2 shown]
	ds_read_u16 v14, v8
	ds_read_u16 v3, v11
	s_and_saveexec_b64 s[2:3], s[0:1]
	s_cbranch_execz .LBB0_25
; %bb.24:
	ds_read_u16 v20, v8 offset:1344
	ds_read_u16 v1, v9
	ds_read_u16 v13, v8 offset:2112
.LBB0_25:
	s_or_b64 exec, exec, s[2:3]
	v_add_u32_e32 v26, 0xffffffa0, v6
	s_mov_b32 s2, 0xaaab
	v_cndmask_b32_e64 v26, v26, v6, s[0:1]
	v_mul_u32_u24_sdwa v29, v7, s2 dst_sel:DWORD dst_unused:UNUSED_PAD src0_sel:WORD_0 src1_sel:DWORD
	v_lshlrev_b32_e32 v26, 1, v26
	v_mov_b32_e32 v27, 0
	v_lshrrev_b32_e32 v35, 22, v29
	v_mul_u32_u24_sdwa v30, v10, s2 dst_sel:DWORD dst_unused:UNUSED_PAD src0_sel:WORD_0 src1_sel:DWORD
	v_lshlrev_b64 v[27:28], 2, v[26:27]
	v_mul_lo_u16_e32 v29, 0x60, v35
	v_lshrrev_b32_e32 v30, 22, v30
	v_sub_u16_e32 v36, v7, v29
	v_mul_lo_u16_e32 v31, 0x60, v30
	v_mov_b32_e32 v33, s9
	v_lshlrev_b32_e32 v29, 3, v36
	v_sub_u16_e32 v37, v10, v31
	v_add_co_u32_e64 v27, s[2:3], s8, v27
	global_load_dwordx2 v[29:30], v29, s[8:9] offset:368
	v_lshlrev_b32_e32 v10, 3, v37
	v_addc_co_u32_e64 v28, s[2:3], v33, v28, s[2:3]
	global_load_dwordx2 v[33:34], v[27:28], off offset:368
	global_load_dwordx2 v[31:32], v10, s[8:9] offset:368
	s_movk_i32 s2, 0x5f
	v_mov_b32_e32 v10, 0x240
	v_cmp_lt_u32_e64 s[2:3], s2, v6
	v_cndmask_b32_e64 v10, 0, v10, s[2:3]
	v_add3_u32 v26, 0, v10, v26
	v_mul_u32_u24_e32 v10, 0x240, v35
	v_lshlrev_b32_e32 v27, 1, v36
	v_add3_u32 v27, 0, v10, v27
	s_waitcnt vmcnt(0) lgkmcnt(0)
	s_barrier
	v_mul_f16_sdwa v10, v25, v29 dst_sel:DWORD dst_unused:UNUSED_PAD src0_sel:DWORD src1_sel:WORD_1
	v_mul_f16_sdwa v28, v21, v29 dst_sel:DWORD dst_unused:UNUSED_PAD src0_sel:DWORD src1_sel:WORD_1
	;; [unrolled: 1-line block ×11, first 2 shown]
	v_fma_f16 v10, v21, v29, v10
	v_fma_f16 v28, v25, v29, -v28
	v_fma_f16 v25, v19, v30, v35
	v_mul_f16_sdwa v45, v17, v34 dst_sel:DWORD dst_unused:UNUSED_PAD src0_sel:DWORD src1_sel:WORD_1
	v_fma_f16 v29, v24, v30, -v36
	v_fma_f16 v19, v2, v31, v38
	v_fma_f16 v21, v20, v31, -v39
	v_fma_f16 v20, v12, v32, v40
	;; [unrolled: 2-line block ×4, first 2 shown]
	v_add_f16_e32 v22, v10, v25
	v_fma_f16 v17, v23, v34, -v45
	v_add_f16_e32 v18, v16, v10
	v_sub_f16_e32 v23, v28, v29
	v_add_f16_e32 v30, v15, v2
	v_add_f16_e32 v31, v2, v12
	v_fma_f16 v16, v22, -0.5, v16
	v_sub_f16_e32 v32, v13, v17
	v_add_f16_e32 v22, v30, v12
	v_fma_f16 v15, v31, -0.5, v15
	v_fma_f16 v30, v23, s4, v16
	v_fma_f16 v16, v23, s5, v16
	v_add_f16_e32 v18, v18, v25
	v_fma_f16 v23, v32, s4, v15
	v_fma_f16 v15, v32, s5, v15
	ds_write_b16 v26, v22
	ds_write_b16 v26, v23 offset:192
	ds_write_b16 v26, v15 offset:384
	ds_write_b16 v27, v18
	ds_write_b16 v27, v30 offset:192
	ds_write_b16 v27, v16 offset:384
	v_lshl_add_u32 v16, v37, 1, 0
	s_and_saveexec_b64 s[2:3], s[0:1]
	s_cbranch_execz .LBB0_27
; %bb.26:
	v_add_f16_e32 v15, v19, v20
	v_fma_f16 v15, v15, -0.5, v0
	v_add_f16_e32 v0, v0, v19
	v_sub_f16_e32 v18, v21, v24
	v_add_f16_e32 v0, v0, v20
	v_fma_f16 v22, v18, s5, v15
	v_fma_f16 v15, v18, s4, v15
	ds_write_b16 v16, v0 offset:1728
	ds_write_b16 v16, v15 offset:1920
	ds_write_b16 v16, v22 offset:2112
.LBB0_27:
	s_or_b64 exec, exec, s[2:3]
	v_add_f16_e32 v0, v14, v13
	v_add_f16_e32 v18, v0, v17
	;; [unrolled: 1-line block ×3, first 2 shown]
	v_fma_f16 v0, v0, -0.5, v14
	v_sub_f16_e32 v2, v2, v12
	v_fma_f16 v17, v2, s5, v0
	v_fma_f16 v22, v2, s4, v0
	v_add_f16_e32 v0, v3, v28
	v_add_f16_e32 v23, v0, v29
	;; [unrolled: 1-line block ×3, first 2 shown]
	v_fma_f16 v0, v0, -0.5, v3
	v_sub_f16_e32 v2, v10, v25
	v_fma_f16 v25, v2, s5, v0
	v_fma_f16 v28, v2, s4, v0
	s_waitcnt lgkmcnt(0)
	s_barrier
	ds_read_u16 v13, v9
	ds_read_u16 v2, v8 offset:2016
	ds_read_u16 v14, v8 offset:1728
	;; [unrolled: 1-line block ×5, first 2 shown]
	ds_read_u16 v12, v8
	ds_read_u16 v0, v11
	s_waitcnt lgkmcnt(0)
	s_barrier
	ds_write_b16 v26, v18
	ds_write_b16 v26, v17 offset:192
	ds_write_b16 v26, v22 offset:384
	ds_write_b16 v27, v23
	ds_write_b16 v27, v25 offset:192
	ds_write_b16 v27, v28 offset:384
	s_and_saveexec_b64 s[2:3], s[0:1]
	s_cbranch_execz .LBB0_29
; %bb.28:
	v_add_f16_e32 v18, v21, v24
	v_add_f16_e32 v17, v1, v21
	v_fma_f16 v1, v18, -0.5, v1
	v_sub_f16_e32 v18, v19, v20
	s_movk_i32 s0, 0x3aee
	v_add_f16_e32 v17, v17, v24
	v_fma_f16 v19, v18, s0, v1
	s_mov_b32 s0, 0xbaee
	v_fma_f16 v1, v18, s0, v1
	ds_write_b16 v16, v17 offset:1728
	ds_write_b16 v16, v19 offset:1920
	;; [unrolled: 1-line block ×3, first 2 shown]
.LBB0_29:
	s_or_b64 exec, exec, s[2:3]
	s_waitcnt lgkmcnt(0)
	s_barrier
	s_and_saveexec_b64 s[0:1], vcc
	s_cbranch_execz .LBB0_31
; %bb.30:
	v_mul_i32_i24_e32 v19, 3, v7
	v_mov_b32_e32 v20, 0
	v_mul_u32_u24_e32 v1, 3, v6
	v_lshlrev_b64 v[19:20], 2, v[19:20]
	v_lshlrev_b32_e32 v1, 2, v1
	global_load_dwordx3 v[16:18], v1, s[8:9] offset:1136
	v_mov_b32_e32 v1, s9
	v_add_co_u32_e32 v19, vcc, s8, v19
	v_addc_co_u32_e32 v20, vcc, v1, v20, vcc
	global_load_dwordx3 v[19:21], v[19:20], off offset:1136
	v_mad_u64_u32 v[22:23], s[0:1], s12, v6, 0
	ds_read_u16 v11, v11
	ds_read_u16 v9, v9
	ds_read_u16 v25, v8 offset:2016
	ds_read_u16 v26, v8 offset:1728
	ds_read_u16 v27, v8 offset:1440
	ds_read_u16 v28, v8 offset:1152
	ds_read_u16 v29, v8 offset:864
	ds_read_u16 v30, v8
	v_mov_b32_e32 v1, v23
	v_mad_u64_u32 v[7:8], s[0:1], s13, v6, v[1:2]
	v_mov_b32_e32 v24, s15
	v_add_co_u32_e32 v32, vcc, s14, v4
	v_mov_b32_e32 v23, v7
	v_addc_co_u32_e32 v24, vcc, v24, v5, vcc
	v_lshlrev_b64 v[4:5], 2, v[22:23]
	v_add_u32_e32 v31, 0x120, v6
	s_waitcnt vmcnt(1)
	v_lshrrev_b32_e32 v1, 16, v17
	v_mul_f16_e32 v7, v15, v17
	v_mul_f16_sdwa v8, v13, v16 dst_sel:DWORD dst_unused:UNUSED_PAD src0_sel:DWORD src1_sel:WORD_1
	s_waitcnt lgkmcnt(6)
	v_mul_f16_sdwa v22, v9, v16 dst_sel:DWORD dst_unused:UNUSED_PAD src0_sel:DWORD src1_sel:WORD_1
	v_mul_f16_sdwa v23, v14, v18 dst_sel:DWORD dst_unused:UNUSED_PAD src0_sel:DWORD src1_sel:WORD_1
	s_waitcnt lgkmcnt(4)
	v_mul_f16_sdwa v33, v26, v18 dst_sel:DWORD dst_unused:UNUSED_PAD src0_sel:DWORD src1_sel:WORD_1
	s_waitcnt lgkmcnt(2)
	v_fma_f16 v7, v28, v1, v7
	v_mul_f16_e32 v1, v15, v1
	v_fma_f16 v8, v9, v16, -v8
	v_fma_f16 v9, v13, v16, v22
	v_fma_f16 v13, v26, v18, -v23
	v_fma_f16 v14, v14, v18, v33
	v_fma_f16 v1, v28, v17, -v1
	s_waitcnt vmcnt(0)
	v_lshrrev_b32_e32 v15, 16, v20
	v_mul_f16_e32 v16, v3, v20
	s_waitcnt lgkmcnt(1)
	v_mul_f16_sdwa v22, v29, v19 dst_sel:DWORD dst_unused:UNUSED_PAD src0_sel:DWORD src1_sel:WORD_1
	v_mul_f16_sdwa v23, v25, v21 dst_sel:DWORD dst_unused:UNUSED_PAD src0_sel:DWORD src1_sel:WORD_1
	v_sub_f16_e32 v7, v12, v7
	v_sub_f16_e32 v13, v8, v13
	;; [unrolled: 1-line block ×3, first 2 shown]
	v_mul_f16_sdwa v17, v10, v19 dst_sel:DWORD dst_unused:UNUSED_PAD src0_sel:DWORD src1_sel:WORD_1
	v_mul_f16_sdwa v18, v2, v21 dst_sel:DWORD dst_unused:UNUSED_PAD src0_sel:DWORD src1_sel:WORD_1
	s_waitcnt lgkmcnt(0)
	v_sub_f16_e32 v1, v30, v1
	v_fma_f16 v16, v27, v15, v16
	v_mul_f16_e32 v3, v3, v15
	v_fma_f16 v10, v10, v19, v22
	v_fma_f16 v2, v2, v21, v23
	v_fma_f16 v17, v29, v19, -v17
	v_fma_f16 v18, v25, v21, -v18
	v_fma_f16 v8, v8, 2.0, -v13
	v_add_f16_e32 v13, v7, v13
	v_fma_f16 v12, v12, 2.0, -v7
	v_fma_f16 v9, v9, 2.0, -v14
	v_sub_f16_e32 v14, v1, v14
	v_sub_f16_e32 v16, v0, v16
	v_fma_f16 v3, v27, v20, -v3
	v_sub_f16_e32 v2, v10, v2
	v_fma_f16 v15, v7, 2.0, -v13
	v_sub_f16_e32 v9, v12, v9
	v_fma_f16 v7, v30, 2.0, -v1
	;; [unrolled: 2-line block ×4, first 2 shown]
	v_fma_f16 v3, v10, 2.0, -v2
	v_sub_f16_e32 v20, v7, v8
	v_fma_f16 v8, v12, 2.0, -v9
	v_add_f16_e32 v12, v16, v18
	v_fma_f16 v10, v17, 2.0, -v18
	v_sub_f16_e32 v17, v1, v2
	v_sub_f16_e32 v18, v0, v3
	v_fma_f16 v2, v11, 2.0, -v1
	v_fma_f16 v11, v1, 2.0, -v17
	;; [unrolled: 1-line block ×3, first 2 shown]
	v_mad_u64_u32 v[0:1], s[0:1], s12, v31, 0
	v_sub_f16_e32 v10, v2, v10
	v_fma_f16 v22, v2, 2.0, -v10
	v_add_co_u32_e32 v2, vcc, v32, v4
	v_addc_co_u32_e32 v3, vcc, v24, v5, vcc
	v_mad_u64_u32 v[4:5], s[0:1], s13, v31, v[1:2]
	v_fma_f16 v7, v7, 2.0, -v20
	v_add_u32_e32 v5, 0x240, v6
	v_pack_b32_f16 v23, v8, v7
	v_mad_u64_u32 v[7:8], s[0:1], s12, v5, 0
	global_store_dword v[2:3], v23, off
	v_mov_b32_e32 v1, v4
	v_mov_b32_e32 v2, v8
	v_mad_u64_u32 v[2:3], s[0:1], s13, v5, v[2:3]
	v_lshlrev_b64 v[0:1], 2, v[0:1]
	v_pack_b32_f16 v3, v15, v19
	v_add_co_u32_e32 v0, vcc, v32, v0
	v_addc_co_u32_e32 v1, vcc, v24, v1, vcc
	v_mov_b32_e32 v8, v2
	v_add_u32_e32 v4, 0x360, v6
	global_store_dword v[0:1], v3, off
	v_lshlrev_b64 v[0:1], 2, v[7:8]
	v_mad_u64_u32 v[2:3], s[0:1], s12, v4, 0
	v_add_co_u32_e32 v0, vcc, v32, v0
	v_addc_co_u32_e32 v1, vcc, v24, v1, vcc
	v_pack_b32_f16 v5, v9, v20
	global_store_dword v[0:1], v5, off
	v_mov_b32_e32 v0, v3
	v_mad_u64_u32 v[0:1], s[0:1], s13, v4, v[0:1]
	v_add_u32_e32 v4, 0x90, v6
	s_mov_b32 s0, 0x38e38e39
	v_mul_hi_u32 v5, v4, s0
	v_mov_b32_e32 v3, v0
	s_movk_i32 s0, 0x360
	v_lshlrev_b64 v[0:1], 2, v[2:3]
	v_lshrrev_b32_e32 v2, 6, v5
	v_mad_u32_u24 v6, v2, s0, v4
	v_mad_u64_u32 v[2:3], s[0:1], s12, v6, 0
	v_add_u32_e32 v8, 0x120, v6
	v_add_co_u32_e32 v0, vcc, v32, v0
	v_mad_u64_u32 v[3:4], s[0:1], s13, v6, v[3:4]
	v_mad_u64_u32 v[4:5], s[0:1], s12, v8, 0
	v_addc_co_u32_e32 v1, vcc, v24, v1, vcc
	v_pack_b32_f16 v7, v13, v14
	global_store_dword v[0:1], v7, off
	v_lshlrev_b64 v[0:1], 2, v[2:3]
	v_mov_b32_e32 v2, v5
	v_mad_u64_u32 v[2:3], s[0:1], s13, v8, v[2:3]
	v_add_co_u32_e32 v0, vcc, v32, v0
	v_addc_co_u32_e32 v1, vcc, v24, v1, vcc
	v_pack_b32_f16 v3, v21, v22
	v_mov_b32_e32 v5, v2
	global_store_dword v[0:1], v3, off
	v_lshlrev_b64 v[0:1], 2, v[4:5]
	v_add_u32_e32 v4, 0x240, v6
	v_mad_u64_u32 v[2:3], s[0:1], s12, v4, 0
	v_add_u32_e32 v6, 0x360, v6
	v_fma_f16 v16, v16, 2.0, -v12
	v_mad_u64_u32 v[3:4], s[0:1], s13, v4, v[3:4]
	v_mad_u64_u32 v[4:5], s[0:1], s12, v6, 0
	v_add_co_u32_e32 v0, vcc, v32, v0
	v_addc_co_u32_e32 v1, vcc, v24, v1, vcc
	v_pack_b32_f16 v7, v16, v11
	global_store_dword v[0:1], v7, off
	v_lshlrev_b64 v[0:1], 2, v[2:3]
	v_mov_b32_e32 v2, v5
	v_mad_u64_u32 v[2:3], s[0:1], s13, v6, v[2:3]
	v_add_co_u32_e32 v0, vcc, v32, v0
	v_addc_co_u32_e32 v1, vcc, v24, v1, vcc
	v_pack_b32_f16 v3, v18, v10
	v_mov_b32_e32 v5, v2
	global_store_dword v[0:1], v3, off
	v_lshlrev_b64 v[0:1], 2, v[4:5]
	v_pack_b32_f16 v2, v12, v17
	v_add_co_u32_e32 v0, vcc, v32, v0
	v_addc_co_u32_e32 v1, vcc, v24, v1, vcc
	global_store_dword v[0:1], v2, off
.LBB0_31:
	s_endpgm
	.section	.rodata,"a",@progbits
	.p2align	6, 0x0
	.amdhsa_kernel fft_rtc_back_len1152_factors_4_3_8_3_4_wgs_144_tpt_144_halfLds_half_ip_CI_sbrr_dirReg
		.amdhsa_group_segment_fixed_size 0
		.amdhsa_private_segment_fixed_size 0
		.amdhsa_kernarg_size 88
		.amdhsa_user_sgpr_count 6
		.amdhsa_user_sgpr_private_segment_buffer 1
		.amdhsa_user_sgpr_dispatch_ptr 0
		.amdhsa_user_sgpr_queue_ptr 0
		.amdhsa_user_sgpr_kernarg_segment_ptr 1
		.amdhsa_user_sgpr_dispatch_id 0
		.amdhsa_user_sgpr_flat_scratch_init 0
		.amdhsa_user_sgpr_private_segment_size 0
		.amdhsa_uses_dynamic_stack 0
		.amdhsa_system_sgpr_private_segment_wavefront_offset 0
		.amdhsa_system_sgpr_workgroup_id_x 1
		.amdhsa_system_sgpr_workgroup_id_y 0
		.amdhsa_system_sgpr_workgroup_id_z 0
		.amdhsa_system_sgpr_workgroup_info 0
		.amdhsa_system_vgpr_workitem_id 0
		.amdhsa_next_free_vgpr 47
		.amdhsa_next_free_sgpr 24
		.amdhsa_reserve_vcc 1
		.amdhsa_reserve_flat_scratch 0
		.amdhsa_float_round_mode_32 0
		.amdhsa_float_round_mode_16_64 0
		.amdhsa_float_denorm_mode_32 3
		.amdhsa_float_denorm_mode_16_64 3
		.amdhsa_dx10_clamp 1
		.amdhsa_ieee_mode 1
		.amdhsa_fp16_overflow 0
		.amdhsa_exception_fp_ieee_invalid_op 0
		.amdhsa_exception_fp_denorm_src 0
		.amdhsa_exception_fp_ieee_div_zero 0
		.amdhsa_exception_fp_ieee_overflow 0
		.amdhsa_exception_fp_ieee_underflow 0
		.amdhsa_exception_fp_ieee_inexact 0
		.amdhsa_exception_int_div_zero 0
	.end_amdhsa_kernel
	.text
.Lfunc_end0:
	.size	fft_rtc_back_len1152_factors_4_3_8_3_4_wgs_144_tpt_144_halfLds_half_ip_CI_sbrr_dirReg, .Lfunc_end0-fft_rtc_back_len1152_factors_4_3_8_3_4_wgs_144_tpt_144_halfLds_half_ip_CI_sbrr_dirReg
                                        ; -- End function
	.section	.AMDGPU.csdata,"",@progbits
; Kernel info:
; codeLenInByte = 6160
; NumSgprs: 28
; NumVgprs: 47
; ScratchSize: 0
; MemoryBound: 0
; FloatMode: 240
; IeeeMode: 1
; LDSByteSize: 0 bytes/workgroup (compile time only)
; SGPRBlocks: 3
; VGPRBlocks: 11
; NumSGPRsForWavesPerEU: 28
; NumVGPRsForWavesPerEU: 47
; Occupancy: 5
; WaveLimiterHint : 1
; COMPUTE_PGM_RSRC2:SCRATCH_EN: 0
; COMPUTE_PGM_RSRC2:USER_SGPR: 6
; COMPUTE_PGM_RSRC2:TRAP_HANDLER: 0
; COMPUTE_PGM_RSRC2:TGID_X_EN: 1
; COMPUTE_PGM_RSRC2:TGID_Y_EN: 0
; COMPUTE_PGM_RSRC2:TGID_Z_EN: 0
; COMPUTE_PGM_RSRC2:TIDIG_COMP_CNT: 0
	.type	__hip_cuid_7b087817dd974a76,@object ; @__hip_cuid_7b087817dd974a76
	.section	.bss,"aw",@nobits
	.globl	__hip_cuid_7b087817dd974a76
__hip_cuid_7b087817dd974a76:
	.byte	0                               ; 0x0
	.size	__hip_cuid_7b087817dd974a76, 1

	.ident	"AMD clang version 19.0.0git (https://github.com/RadeonOpenCompute/llvm-project roc-6.4.0 25133 c7fe45cf4b819c5991fe208aaa96edf142730f1d)"
	.section	".note.GNU-stack","",@progbits
	.addrsig
	.addrsig_sym __hip_cuid_7b087817dd974a76
	.amdgpu_metadata
---
amdhsa.kernels:
  - .args:
      - .actual_access:  read_only
        .address_space:  global
        .offset:         0
        .size:           8
        .value_kind:     global_buffer
      - .offset:         8
        .size:           8
        .value_kind:     by_value
      - .actual_access:  read_only
        .address_space:  global
        .offset:         16
        .size:           8
        .value_kind:     global_buffer
      - .actual_access:  read_only
        .address_space:  global
        .offset:         24
        .size:           8
        .value_kind:     global_buffer
      - .offset:         32
        .size:           8
        .value_kind:     by_value
      - .actual_access:  read_only
        .address_space:  global
        .offset:         40
        .size:           8
        .value_kind:     global_buffer
      - .actual_access:  read_only
        .address_space:  global
        .offset:         48
        .size:           8
        .value_kind:     global_buffer
      - .offset:         56
        .size:           4
        .value_kind:     by_value
      - .actual_access:  read_only
        .address_space:  global
        .offset:         64
        .size:           8
        .value_kind:     global_buffer
      - .actual_access:  read_only
        .address_space:  global
        .offset:         72
        .size:           8
        .value_kind:     global_buffer
      - .address_space:  global
        .offset:         80
        .size:           8
        .value_kind:     global_buffer
    .group_segment_fixed_size: 0
    .kernarg_segment_align: 8
    .kernarg_segment_size: 88
    .language:       OpenCL C
    .language_version:
      - 2
      - 0
    .max_flat_workgroup_size: 144
    .name:           fft_rtc_back_len1152_factors_4_3_8_3_4_wgs_144_tpt_144_halfLds_half_ip_CI_sbrr_dirReg
    .private_segment_fixed_size: 0
    .sgpr_count:     28
    .sgpr_spill_count: 0
    .symbol:         fft_rtc_back_len1152_factors_4_3_8_3_4_wgs_144_tpt_144_halfLds_half_ip_CI_sbrr_dirReg.kd
    .uniform_work_group_size: 1
    .uses_dynamic_stack: false
    .vgpr_count:     47
    .vgpr_spill_count: 0
    .wavefront_size: 64
amdhsa.target:   amdgcn-amd-amdhsa--gfx906
amdhsa.version:
  - 1
  - 2
...

	.end_amdgpu_metadata
